;; amdgpu-corpus repo=ROCm/rocFFT kind=compiled arch=gfx1030 opt=O3
	.text
	.amdgcn_target "amdgcn-amd-amdhsa--gfx1030"
	.amdhsa_code_object_version 6
	.protected	fft_rtc_back_len768_factors_16_3_16_wgs_48_tpt_48_halfLds_sp_ip_CI_sbrr_dirReg ; -- Begin function fft_rtc_back_len768_factors_16_3_16_wgs_48_tpt_48_halfLds_sp_ip_CI_sbrr_dirReg
	.globl	fft_rtc_back_len768_factors_16_3_16_wgs_48_tpt_48_halfLds_sp_ip_CI_sbrr_dirReg
	.p2align	8
	.type	fft_rtc_back_len768_factors_16_3_16_wgs_48_tpt_48_halfLds_sp_ip_CI_sbrr_dirReg,@function
fft_rtc_back_len768_factors_16_3_16_wgs_48_tpt_48_halfLds_sp_ip_CI_sbrr_dirReg: ; @fft_rtc_back_len768_factors_16_3_16_wgs_48_tpt_48_halfLds_sp_ip_CI_sbrr_dirReg
; %bb.0:
	s_clause 0x2
	s_load_dwordx2 s[14:15], s[4:5], 0x18
	s_load_dwordx4 s[8:11], s[4:5], 0x0
	s_load_dwordx2 s[12:13], s[4:5], 0x50
	v_mul_u32_u24_e32 v1, 0x556, v0
	v_mov_b32_e32 v3, 0
	v_add_nc_u32_sdwa v5, s6, v1 dst_sel:DWORD dst_unused:UNUSED_PAD src0_sel:DWORD src1_sel:WORD_1
	v_mov_b32_e32 v1, 0
	v_mov_b32_e32 v6, v3
	v_mov_b32_e32 v2, 0
	s_waitcnt lgkmcnt(0)
	s_load_dwordx2 s[2:3], s[14:15], 0x0
	v_cmp_lt_u64_e64 s0, s[10:11], 2
	s_and_b32 vcc_lo, exec_lo, s0
	s_cbranch_vccnz .LBB0_8
; %bb.1:
	s_load_dwordx2 s[0:1], s[4:5], 0x10
	v_mov_b32_e32 v1, 0
	s_add_u32 s6, s14, 8
	v_mov_b32_e32 v2, 0
	s_addc_u32 s7, s15, 0
	s_mov_b64 s[18:19], 1
	s_waitcnt lgkmcnt(0)
	s_add_u32 s16, s0, 8
	s_addc_u32 s17, s1, 0
.LBB0_2:                                ; =>This Inner Loop Header: Depth=1
	s_load_dwordx2 s[20:21], s[16:17], 0x0
                                        ; implicit-def: $vgpr7_vgpr8
	s_mov_b32 s0, exec_lo
	s_waitcnt lgkmcnt(0)
	v_or_b32_e32 v4, s21, v6
	v_cmpx_ne_u64_e32 0, v[3:4]
	s_xor_b32 s1, exec_lo, s0
	s_cbranch_execz .LBB0_4
; %bb.3:                                ;   in Loop: Header=BB0_2 Depth=1
	v_cvt_f32_u32_e32 v4, s20
	v_cvt_f32_u32_e32 v7, s21
	s_sub_u32 s0, 0, s20
	s_subb_u32 s22, 0, s21
	v_fmac_f32_e32 v4, 0x4f800000, v7
	v_rcp_f32_e32 v4, v4
	v_mul_f32_e32 v4, 0x5f7ffffc, v4
	v_mul_f32_e32 v7, 0x2f800000, v4
	v_trunc_f32_e32 v7, v7
	v_fmac_f32_e32 v4, 0xcf800000, v7
	v_cvt_u32_f32_e32 v7, v7
	v_cvt_u32_f32_e32 v4, v4
	v_mul_lo_u32 v8, s0, v7
	v_mul_hi_u32 v9, s0, v4
	v_mul_lo_u32 v10, s22, v4
	v_add_nc_u32_e32 v8, v9, v8
	v_mul_lo_u32 v9, s0, v4
	v_add_nc_u32_e32 v8, v8, v10
	v_mul_hi_u32 v10, v4, v9
	v_mul_lo_u32 v11, v4, v8
	v_mul_hi_u32 v12, v4, v8
	v_mul_hi_u32 v13, v7, v9
	v_mul_lo_u32 v9, v7, v9
	v_mul_hi_u32 v14, v7, v8
	v_mul_lo_u32 v8, v7, v8
	v_add_co_u32 v10, vcc_lo, v10, v11
	v_add_co_ci_u32_e32 v11, vcc_lo, 0, v12, vcc_lo
	v_add_co_u32 v9, vcc_lo, v10, v9
	v_add_co_ci_u32_e32 v9, vcc_lo, v11, v13, vcc_lo
	v_add_co_ci_u32_e32 v10, vcc_lo, 0, v14, vcc_lo
	v_add_co_u32 v8, vcc_lo, v9, v8
	v_add_co_ci_u32_e32 v9, vcc_lo, 0, v10, vcc_lo
	v_add_co_u32 v4, vcc_lo, v4, v8
	v_add_co_ci_u32_e32 v7, vcc_lo, v7, v9, vcc_lo
	v_mul_hi_u32 v8, s0, v4
	v_mul_lo_u32 v10, s22, v4
	v_mul_lo_u32 v9, s0, v7
	v_add_nc_u32_e32 v8, v8, v9
	v_mul_lo_u32 v9, s0, v4
	v_add_nc_u32_e32 v8, v8, v10
	v_mul_hi_u32 v10, v4, v9
	v_mul_lo_u32 v11, v4, v8
	v_mul_hi_u32 v12, v4, v8
	v_mul_hi_u32 v13, v7, v9
	v_mul_lo_u32 v9, v7, v9
	v_mul_hi_u32 v14, v7, v8
	v_mul_lo_u32 v8, v7, v8
	v_add_co_u32 v10, vcc_lo, v10, v11
	v_add_co_ci_u32_e32 v11, vcc_lo, 0, v12, vcc_lo
	v_add_co_u32 v9, vcc_lo, v10, v9
	v_add_co_ci_u32_e32 v9, vcc_lo, v11, v13, vcc_lo
	v_add_co_ci_u32_e32 v10, vcc_lo, 0, v14, vcc_lo
	v_add_co_u32 v8, vcc_lo, v9, v8
	v_add_co_ci_u32_e32 v9, vcc_lo, 0, v10, vcc_lo
	v_add_co_u32 v4, vcc_lo, v4, v8
	v_add_co_ci_u32_e32 v11, vcc_lo, v7, v9, vcc_lo
	v_mul_hi_u32 v13, v5, v4
	v_mad_u64_u32 v[9:10], null, v6, v4, 0
	v_mad_u64_u32 v[7:8], null, v5, v11, 0
	;; [unrolled: 1-line block ×3, first 2 shown]
	v_add_co_u32 v4, vcc_lo, v13, v7
	v_add_co_ci_u32_e32 v7, vcc_lo, 0, v8, vcc_lo
	v_add_co_u32 v4, vcc_lo, v4, v9
	v_add_co_ci_u32_e32 v4, vcc_lo, v7, v10, vcc_lo
	v_add_co_ci_u32_e32 v7, vcc_lo, 0, v12, vcc_lo
	v_add_co_u32 v4, vcc_lo, v4, v11
	v_add_co_ci_u32_e32 v9, vcc_lo, 0, v7, vcc_lo
	v_mul_lo_u32 v10, s21, v4
	v_mad_u64_u32 v[7:8], null, s20, v4, 0
	v_mul_lo_u32 v11, s20, v9
	v_sub_co_u32 v7, vcc_lo, v5, v7
	v_add3_u32 v8, v8, v11, v10
	v_sub_nc_u32_e32 v10, v6, v8
	v_subrev_co_ci_u32_e64 v10, s0, s21, v10, vcc_lo
	v_add_co_u32 v11, s0, v4, 2
	v_add_co_ci_u32_e64 v12, s0, 0, v9, s0
	v_sub_co_u32 v13, s0, v7, s20
	v_sub_co_ci_u32_e32 v8, vcc_lo, v6, v8, vcc_lo
	v_subrev_co_ci_u32_e64 v10, s0, 0, v10, s0
	v_cmp_le_u32_e32 vcc_lo, s20, v13
	v_cmp_eq_u32_e64 s0, s21, v8
	v_cndmask_b32_e64 v13, 0, -1, vcc_lo
	v_cmp_le_u32_e32 vcc_lo, s21, v10
	v_cndmask_b32_e64 v14, 0, -1, vcc_lo
	v_cmp_le_u32_e32 vcc_lo, s20, v7
	;; [unrolled: 2-line block ×3, first 2 shown]
	v_cndmask_b32_e64 v15, 0, -1, vcc_lo
	v_cmp_eq_u32_e32 vcc_lo, s21, v10
	v_cndmask_b32_e64 v7, v15, v7, s0
	v_cndmask_b32_e32 v10, v14, v13, vcc_lo
	v_add_co_u32 v13, vcc_lo, v4, 1
	v_add_co_ci_u32_e32 v14, vcc_lo, 0, v9, vcc_lo
	v_cmp_ne_u32_e32 vcc_lo, 0, v10
	v_cndmask_b32_e32 v8, v14, v12, vcc_lo
	v_cndmask_b32_e32 v10, v13, v11, vcc_lo
	v_cmp_ne_u32_e32 vcc_lo, 0, v7
	v_cndmask_b32_e32 v8, v9, v8, vcc_lo
	v_cndmask_b32_e32 v7, v4, v10, vcc_lo
.LBB0_4:                                ;   in Loop: Header=BB0_2 Depth=1
	s_andn2_saveexec_b32 s0, s1
	s_cbranch_execz .LBB0_6
; %bb.5:                                ;   in Loop: Header=BB0_2 Depth=1
	v_cvt_f32_u32_e32 v4, s20
	s_sub_i32 s1, 0, s20
	v_rcp_iflag_f32_e32 v4, v4
	v_mul_f32_e32 v4, 0x4f7ffffe, v4
	v_cvt_u32_f32_e32 v4, v4
	v_mul_lo_u32 v7, s1, v4
	v_mul_hi_u32 v7, v4, v7
	v_add_nc_u32_e32 v4, v4, v7
	v_mul_hi_u32 v4, v5, v4
	v_mul_lo_u32 v7, v4, s20
	v_add_nc_u32_e32 v8, 1, v4
	v_sub_nc_u32_e32 v7, v5, v7
	v_subrev_nc_u32_e32 v9, s20, v7
	v_cmp_le_u32_e32 vcc_lo, s20, v7
	v_cndmask_b32_e32 v7, v7, v9, vcc_lo
	v_cndmask_b32_e32 v4, v4, v8, vcc_lo
	v_cmp_le_u32_e32 vcc_lo, s20, v7
	v_add_nc_u32_e32 v8, 1, v4
	v_cndmask_b32_e32 v7, v4, v8, vcc_lo
	v_mov_b32_e32 v8, v3
.LBB0_6:                                ;   in Loop: Header=BB0_2 Depth=1
	s_or_b32 exec_lo, exec_lo, s0
	s_load_dwordx2 s[0:1], s[6:7], 0x0
	v_mul_lo_u32 v4, v8, s20
	v_mul_lo_u32 v11, v7, s21
	v_mad_u64_u32 v[9:10], null, v7, s20, 0
	s_add_u32 s18, s18, 1
	s_addc_u32 s19, s19, 0
	s_add_u32 s6, s6, 8
	s_addc_u32 s7, s7, 0
	;; [unrolled: 2-line block ×3, first 2 shown]
	v_add3_u32 v4, v10, v11, v4
	v_sub_co_u32 v5, vcc_lo, v5, v9
	v_sub_co_ci_u32_e32 v4, vcc_lo, v6, v4, vcc_lo
	s_waitcnt lgkmcnt(0)
	v_mul_lo_u32 v6, s1, v5
	v_mul_lo_u32 v4, s0, v4
	v_mad_u64_u32 v[1:2], null, s0, v5, v[1:2]
	v_cmp_ge_u64_e64 s0, s[18:19], s[10:11]
	s_and_b32 vcc_lo, exec_lo, s0
	v_add3_u32 v2, v6, v2, v4
	s_cbranch_vccnz .LBB0_9
; %bb.7:                                ;   in Loop: Header=BB0_2 Depth=1
	v_mov_b32_e32 v5, v7
	v_mov_b32_e32 v6, v8
	s_branch .LBB0_2
.LBB0_8:
	v_mov_b32_e32 v8, v6
	v_mov_b32_e32 v7, v5
.LBB0_9:
	s_lshl_b64 s[0:1], s[10:11], 3
	v_mul_hi_u32 v3, 0x5555556, v0
	s_add_u32 s0, s14, s0
	s_addc_u32 s1, s15, s1
	s_load_dwordx2 s[4:5], s[4:5], 0x20
	s_load_dwordx2 s[0:1], s[0:1], 0x0
                                        ; implicit-def: $sgpr6
	v_mul_u32_u24_e32 v3, 48, v3
	v_sub_nc_u32_e32 v40, v0, v3
	v_add_nc_u32_e32 v39, 48, v40
	v_add_nc_u32_e32 v38, 0x60, v40
	;; [unrolled: 1-line block ×3, first 2 shown]
	v_or_b32_e32 v36, 0xc0, v40
	v_add_nc_u32_e32 v41, 0xf0, v40
	s_waitcnt lgkmcnt(0)
	v_cmp_gt_u64_e32 vcc_lo, s[4:5], v[7:8]
	v_mul_lo_u32 v0, s0, v8
	v_mul_lo_u32 v4, s1, v7
	v_mad_u64_u32 v[2:3], null, s0, v7, v[1:2]
	v_cmp_le_u64_e64 s0, s[4:5], v[7:8]
                                        ; implicit-def: $sgpr4_sgpr5
	v_add3_u32 v3, v4, v3, v0
	s_and_saveexec_b32 s1, s0
	s_xor_b32 s0, exec_lo, s1
; %bb.10:
	v_add_nc_u32_e32 v39, 48, v40
	v_add_nc_u32_e32 v38, 0x60, v40
	;; [unrolled: 1-line block ×3, first 2 shown]
	v_or_b32_e32 v36, 0xc0, v40
	v_add_nc_u32_e32 v41, 0xf0, v40
	s_mov_b32 s6, 0
	s_mov_b64 s[4:5], 0
; %bb.11:
	s_or_saveexec_b32 s1, s0
	v_mov_b32_e32 v0, s4
	v_lshlrev_b64 v[28:29], 3, v[2:3]
	v_mov_b32_e32 v3, s4
	v_mov_b32_e32 v13, s5
	;; [unrolled: 1-line block ×16, first 2 shown]
                                        ; implicit-def: $vgpr7
                                        ; implicit-def: $vgpr25
                                        ; implicit-def: $vgpr31
                                        ; implicit-def: $vgpr21
                                        ; implicit-def: $vgpr35
                                        ; implicit-def: $vgpr27
                                        ; implicit-def: $vgpr33
                                        ; implicit-def: $vgpr23
	s_xor_b32 exec_lo, exec_lo, s1
	s_cbranch_execz .LBB0_13
; %bb.12:
	v_mad_u64_u32 v[0:1], null, s2, v40, 0
	v_mad_u64_u32 v[2:3], null, s2, v39, 0
	;; [unrolled: 1-line block ×9, first 2 shown]
	v_mov_b32_e32 v5, v7
	v_mov_b32_e32 v1, v8
	;; [unrolled: 1-line block ×3, first 2 shown]
	v_add_co_u32 v48, s0, s12, v28
	v_mad_u64_u32 v[7:8], null, s3, v37, v[5:6]
	v_mov_b32_e32 v5, v10
	v_mov_b32_e32 v8, v12
	v_add_nc_u32_e32 v10, 0x120, v40
	v_lshlrev_b64 v[0:1], 3, v[0:1]
	v_add_co_ci_u32_e64 v49, s0, s13, v29, s0
	v_mad_u64_u32 v[8:9], null, s3, v36, v[8:9]
	v_mad_u64_u32 v[16:17], null, s2, v10, 0
	v_lshlrev_b64 v[2:3], 3, v[2:3]
	v_add_co_u32 v0, s0, v48, v0
	v_lshlrev_b64 v[4:5], 3, v[4:5]
	v_mov_b32_e32 v12, v8
	v_mov_b32_e32 v8, v15
	;; [unrolled: 1-line block ×3, first 2 shown]
	v_add_nc_u32_e32 v24, 0x150, v40
	v_add_co_ci_u32_e64 v1, s0, v49, v1, s0
	v_add_co_u32 v2, s0, v48, v2
	v_mad_u64_u32 v[20:21], null, s3, v41, v[8:9]
	v_lshlrev_b64 v[6:7], 3, v[6:7]
	v_add_co_ci_u32_e64 v3, s0, v49, v3, s0
	v_mad_u64_u32 v[21:22], null, s3, v10, v[9:10]
	v_add_co_u32 v4, s0, v48, v4
	v_mad_u64_u32 v[22:23], null, s2, v24, 0
	v_add_co_ci_u32_e64 v5, s0, v49, v5, s0
	v_mov_b32_e32 v15, v20
	v_add_co_u32 v6, s0, v48, v6
	v_add_co_ci_u32_e64 v7, s0, v49, v7, s0
	v_lshlrev_b64 v[18:19], 3, v[11:12]
	s_clause 0x3
	global_load_dwordx2 v[0:1], v[0:1], off
	global_load_dwordx2 v[10:11], v[2:3], off
	;; [unrolled: 1-line block ×4, first 2 shown]
	v_lshlrev_b64 v[5:6], 3, v[14:15]
	v_mov_b32_e32 v4, v23
	v_mov_b32_e32 v17, v21
	v_or_b32_e32 v7, 0x180, v40
	v_add_co_u32 v2, s0, v48, v18
	v_mad_u64_u32 v[14:15], null, s3, v24, v[4:5]
	v_lshlrev_b64 v[15:16], 3, v[16:17]
	v_mad_u64_u32 v[20:21], null, s2, v7, 0
	v_add_co_ci_u32_e64 v3, s0, v49, v19, s0
	v_add_co_u32 v5, s0, v48, v5
	v_mov_b32_e32 v23, v14
	v_add_nc_u32_e32 v30, 0x1b0, v40
	v_add_co_ci_u32_e64 v6, s0, v49, v6, s0
	v_add_co_u32 v14, s0, v48, v15
	v_add_co_ci_u32_e64 v15, s0, v49, v16, s0
	v_mov_b32_e32 v4, v21
	v_lshlrev_b64 v[16:17], 3, v[22:23]
	v_mad_u64_u32 v[22:23], null, s2, v30, 0
	v_add_nc_u32_e32 v32, 0x210, v40
	v_mad_u64_u32 v[18:19], null, s3, v7, v[4:5]
	v_add_co_u32 v24, s0, v48, v16
	v_add_co_ci_u32_e64 v25, s0, v49, v17, s0
	v_mov_b32_e32 v4, v23
	v_add_nc_u32_e32 v7, 0x1e0, v40
	v_mov_b32_e32 v21, v18
	v_add_nc_u32_e32 v35, 0x270, v40
	v_mad_u64_u32 v[30:31], null, s3, v30, v[4:5]
	s_clause 0x3
	global_load_dwordx2 v[3:4], v[2:3], off
	global_load_dwordx2 v[16:17], v[5:6], off
	;; [unrolled: 1-line block ×4, first 2 shown]
	v_mad_u64_u32 v[26:27], null, s2, v7, 0
	v_mad_u64_u32 v[24:25], null, s2, v32, 0
	v_lshlrev_b64 v[5:6], 3, v[20:21]
	v_mov_b32_e32 v23, v30
	v_mov_b32_e32 v2, v27
	v_add_co_u32 v5, s0, v48, v5
	v_add_co_ci_u32_e64 v6, s0, v49, v6, s0
	s_waitcnt vmcnt(3)
	v_mad_u64_u32 v[20:21], null, s3, v7, v[2:3]
	v_or_b32_e32 v7, 0x240, v40
	v_mov_b32_e32 v2, v25
	v_lshlrev_b64 v[21:22], 3, v[22:23]
	v_mad_u64_u32 v[30:31], null, s2, v7, 0
	v_mad_u64_u32 v[32:33], null, s3, v32, v[2:3]
	v_mov_b32_e32 v27, v20
	v_mad_u64_u32 v[33:34], null, s2, v35, 0
	v_add_co_u32 v20, s0, v48, v21
	v_mov_b32_e32 v2, v31
	v_mov_b32_e32 v25, v32
	v_add_nc_u32_e32 v32, 0x2a0, v40
	v_add_co_ci_u32_e64 v21, s0, v49, v22, s0
	v_lshlrev_b64 v[22:23], 3, v[26:27]
	v_mad_u64_u32 v[26:27], null, s3, v7, v[2:3]
	v_add_nc_u32_e32 v7, 0x2d0, v40
	v_mad_u64_u32 v[42:43], null, s2, v32, 0
	v_mov_b32_e32 v2, v34
	v_lshlrev_b64 v[24:25], 3, v[24:25]
	v_mad_u64_u32 v[44:45], null, s2, v7, 0
	v_add_co_u32 v22, s0, v48, v22
	v_mad_u64_u32 v[34:35], null, s3, v35, v[2:3]
	v_mov_b32_e32 v2, v43
	v_mov_b32_e32 v31, v26
	v_add_co_ci_u32_e64 v23, s0, v49, v23, s0
	v_add_co_u32 v46, s0, v48, v24
	v_mad_u64_u32 v[26:27], null, s3, v32, v[2:3]
	v_mov_b32_e32 v2, v45
	v_add_co_ci_u32_e64 v47, s0, v49, v25, s0
	v_lshlrev_b64 v[24:25], 3, v[30:31]
	v_mad_u64_u32 v[30:31], null, s3, v7, v[2:3]
	v_mov_b32_e32 v43, v26
	v_lshlrev_b64 v[31:32], 3, v[33:34]
	v_add_co_u32 v26, s0, v48, v24
	v_add_co_ci_u32_e64 v27, s0, v49, v25, s0
	v_mov_b32_e32 v45, v30
	v_lshlrev_b64 v[24:25], 3, v[42:43]
	v_add_co_u32 v42, s0, v48, v31
	v_add_co_ci_u32_e64 v43, s0, v49, v32, s0
	v_lshlrev_b64 v[30:31], 3, v[44:45]
	v_add_co_u32 v32, s0, v48, v24
	v_add_co_ci_u32_e64 v33, s0, v49, v25, s0
	v_add_co_u32 v44, s0, v48, v30
	v_add_co_ci_u32_e64 v45, s0, v49, v31, s0
	s_clause 0x7
	global_load_dwordx2 v[6:7], v[5:6], off
	global_load_dwordx2 v[24:25], v[20:21], off
	;; [unrolled: 1-line block ×8, first 2 shown]
	v_mov_b32_e32 v42, v40
.LBB0_13:
	s_or_b32 exec_lo, exec_lo, s1
	s_waitcnt vmcnt(7)
	v_sub_f32_e32 v2, v0, v6
	s_waitcnt vmcnt(5)
	v_sub_f32_e32 v6, v13, v31
	;; [unrolled: 2-line block ×3, first 2 shown]
	v_sub_f32_e32 v5, v12, v30
	v_sub_f32_e32 v32, v19, v33
	v_fma_f32 v30, v0, 2.0, -v2
	v_fma_f32 v0, v13, 2.0, -v6
	;; [unrolled: 1-line block ×3, first 2 shown]
	v_sub_f32_e32 v18, v10, v24
	v_sub_f32_e32 v24, v11, v25
	;; [unrolled: 1-line block ×5, first 2 shown]
	v_fma_f32 v12, v12, 2.0, -v5
	v_fma_f32 v10, v10, 2.0, -v18
	v_sub_f32_e32 v20, v8, v20
	v_fma_f32 v11, v11, 2.0, -v24
	v_fma_f32 v16, v16, 2.0, -v25
	;; [unrolled: 1-line block ×3, first 2 shown]
	s_waitcnt vmcnt(0)
	v_sub_f32_e32 v22, v14, v22
	v_add_f32_e32 v43, v5, v32
	v_sub_f32_e32 v35, v4, v35
	v_fma_f32 v3, v3, 2.0, -v45
	v_fma_f32 v33, v8, 2.0, -v20
	v_sub_f32_e32 v23, v15, v23
	v_fma_f32 v14, v14, 2.0, -v22
	v_sub_f32_e32 v8, v12, v13
	v_sub_f32_e32 v13, v10, v16
	v_fma_f32 v53, v5, 2.0, -v43
	v_sub_f32_e32 v5, v11, v17
	v_add_f32_e32 v16, v18, v26
	v_sub_f32_e32 v27, v9, v21
	v_sub_f32_e32 v3, v30, v3
	v_add_f32_e32 v34, v2, v35
	v_sub_f32_e32 v44, v6, v31
	v_fma_f32 v21, v11, 2.0, -v5
	v_sub_f32_e32 v11, v33, v14
	v_fma_f32 v14, v18, 2.0, -v16
	v_add_f32_e32 v18, v20, v23
	v_fma_f32 v19, v19, 2.0, -v32
	v_fma_f32 v9, v9, 2.0, -v27
	;; [unrolled: 1-line block ×8, first 2 shown]
	v_sub_f32_e32 v10, v24, v25
	v_sub_f32_e32 v31, v27, v22
	v_fma_f32 v22, v20, 2.0, -v18
	v_sub_f32_e32 v19, v0, v19
	v_sub_f32_e32 v15, v9, v15
	v_fma_f32 v17, v24, 2.0, -v10
	v_fma_f32 v23, v33, 2.0, -v11
	v_fmamk_f32 v32, v53, 0xbf3504f3, v2
	v_sub_f32_e32 v33, v30, v12
	v_fma_f32 v12, v27, 2.0, -v31
	v_fmamk_f32 v20, v22, 0xbf3504f3, v14
	v_add_f32_e32 v27, v3, v19
	v_fmac_f32_e32 v32, 0x3f3504f3, v54
	v_add_f32_e32 v56, v13, v15
	v_fmamk_f32 v24, v12, 0xbf3504f3, v17
	v_fmac_f32_e32 v20, 0x3f3504f3, v12
	v_fma_f32 v9, v9, 2.0, -v15
	v_fmamk_f32 v49, v43, 0x3f3504f3, v34
	v_fma_f32 v2, v2, 2.0, -v32
	v_fma_f32 v3, v3, 2.0, -v27
	v_sub_f32_e32 v23, v6, v23
	v_fmac_f32_e32 v24, 0xbf3504f3, v22
	v_fma_f32 v22, v14, 2.0, -v20
	v_fmamk_f32 v26, v18, 0x3f3504f3, v16
	v_sub_f32_e32 v61, v5, v11
	v_fma_f32 v55, v13, 2.0, -v56
	v_fma_f32 v46, v30, 2.0, -v33
	v_fmac_f32_e32 v49, 0x3f3504f3, v44
	v_sub_f32_e32 v47, v21, v9
	v_fma_f32 v12, v6, 2.0, -v23
	v_fma_f32 v25, v17, 2.0, -v24
	v_fmamk_f32 v30, v31, 0x3f3504f3, v10
	v_fmac_f32_e32 v26, 0x3f3504f3, v31
	v_fma_f32 v62, v5, 2.0, -v61
	v_fmamk_f32 v6, v22, 0xbf6c835e, v2
	v_fmamk_f32 v9, v55, 0xbf3504f3, v3
	v_fma_f32 v34, v34, 2.0, -v49
	v_fmac_f32_e32 v30, 0xbf3504f3, v18
	v_fma_f32 v31, v16, 2.0, -v26
	v_fmac_f32_e32 v6, 0x3ec3ef15, v25
	v_fmac_f32_e32 v9, 0x3f3504f3, v62
	v_sub_f32_e32 v5, v46, v12
	v_fma_f32 v48, v10, 2.0, -v30
	v_fmamk_f32 v10, v31, 0xbec3ef15, v34
	v_fma_f32 v12, v2, 2.0, -v6
	v_fma_f32 v13, v3, 2.0, -v9
	v_fmamk_f32 v16, v20, 0x3ec3ef15, v32
	v_fmamk_f32 v2, v56, 0x3f3504f3, v27
	;; [unrolled: 1-line block ×3, first 2 shown]
	v_fma_f32 v11, v46, 2.0, -v5
	v_fmac_f32_e32 v10, 0x3f6c835e, v48
	v_add_f32_e32 v15, v33, v47
	v_fmac_f32_e32 v16, 0x3f6c835e, v24
	v_fmac_f32_e32 v2, 0x3f3504f3, v61
	;; [unrolled: 1-line block ×3, first 2 shown]
	v_lshl_add_u32 v46, v40, 6, 0
	v_fma_f32 v14, v34, 2.0, -v10
	v_fma_f32 v17, v33, 2.0, -v15
	;; [unrolled: 1-line block ×5, first 2 shown]
	v_mad_i32_i24 v34, 0xffffffc4, v40, v46
	ds_write2_b64 v46, v[11:12], v[13:14] offset1:1
	ds_write2_b64 v46, v[17:18], v[32:33] offset0:2 offset1:3
	ds_write2_b64 v46, v[5:6], v[9:10] offset0:4 offset1:5
	;; [unrolled: 1-line block ×3, first 2 shown]
	v_add_nc_u32_e32 v2, 0x800, v34
	v_add_nc_u32_e32 v13, 0x400, v34
	v_lshl_add_u32 v49, v39, 2, 0
	v_lshl_add_u32 v50, v38, 2, 0
	;; [unrolled: 1-line block ×4, first 2 shown]
	s_waitcnt lgkmcnt(0)
	s_barrier
	buffer_gl0_inv
	ds_read2st64_b32 v[5:6], v34 offset1:4
	ds_read2_b32 v[15:16], v2 offset1:48
	ds_read2_b32 v[11:12], v13 offset0:48 offset1:96
	ds_read2_b32 v[9:10], v2 offset0:96 offset1:144
	;; [unrolled: 1-line block ×3, first 2 shown]
	ds_read_b32 v33, v49
	ds_read_b32 v32, v50
	ds_read_b32 v27, v51
	ds_read_b32 v2, v52
	ds_read_b32 v34, v34 offset:2816
	v_mul_i32_i24_e32 v17, 0xffffffc4, v40
	v_mul_f32_e32 v57, 0x3f3504f3, v53
	v_mul_f32_e32 v59, 0x3f3504f3, v54
	;; [unrolled: 1-line block ×8, first 2 shown]
	v_cmp_gt_u32_e64 s0, 16, v40
	v_add_nc_u32_e32 v43, v46, v17
	v_lshl_add_u32 v44, v41, 2, 0
                                        ; implicit-def: $vgpr18
	s_and_saveexec_b32 s1, s0
	s_cbranch_execz .LBB0_15
; %bb.14:
	v_add_nc_u32_e32 v17, 0xc0, v43
	ds_read_b32 v3, v44
	ds_read2st64_b32 v[17:18], v17 offset0:7 offset1:11
.LBB0_15:
	s_or_b32 exec_lo, exec_lo, s1
	v_sub_f32_e32 v7, v1, v7
	v_fma_f32 v4, v4, 2.0, -v35
	v_fma_f32 v0, v0, 2.0, -v19
	;; [unrolled: 1-line block ×3, first 2 shown]
	s_waitcnt lgkmcnt(0)
	v_fma_f32 v1, v1, 2.0, -v7
	v_sub_f32_e32 v35, v7, v45
	s_barrier
	buffer_gl0_inv
	v_sub_f32_e32 v4, v1, v4
	v_fma_f32 v7, v7, 2.0, -v35
	v_add_f32_e32 v41, v35, v60
	v_fma_f32 v19, v1, 2.0, -v4
	v_sub_f32_e32 v1, v7, v59
	v_sub_f32_e32 v45, v4, v8
	;; [unrolled: 1-line block ×5, first 2 shown]
	v_fma_f32 v4, v4, 2.0, -v45
	v_fma_f32 v35, v35, 2.0, -v41
	v_add_f32_e32 v0, v45, v56
	v_fmamk_f32 v1, v30, 0x3f6c835e, v41
	v_fma_f32 v56, v7, 2.0, -v57
	v_fmamk_f32 v24, v24, 0x3ec3ef15, v57
	v_fma_f32 v30, v19, 2.0, -v58
	v_sub_f32_e32 v7, v4, v55
	v_fmamk_f32 v8, v48, 0xbec3ef15, v35
	v_fmamk_f32 v48, v25, 0xbf6c835e, v56
	v_sub_f32_e32 v23, v58, v23
	v_sub_f32_e32 v0, v0, v54
	v_fmac_f32_e32 v1, 0xbec3ef15, v26
	v_fmac_f32_e32 v24, 0xbf6c835e, v20
	v_sub_f32_e32 v47, v30, v21
	v_sub_f32_e32 v7, v7, v53
	v_fmac_f32_e32 v8, 0xbf6c835e, v31
	v_fmac_f32_e32 v48, 0xbec3ef15, v22
	v_fma_f32 v19, v58, 2.0, -v23
	v_fma_f32 v25, v45, 2.0, -v0
	;; [unrolled: 1-line block ×8, first 2 shown]
	ds_write2_b64 v46, v[19:20], v[25:26] offset0:2 offset1:3
	ds_write2_b64 v46, v[21:22], v[30:31] offset1:1
	ds_write2_b64 v46, v[47:48], v[7:8] offset0:4 offset1:5
	ds_write2_b64 v46, v[23:24], v[0:1] offset0:6 offset1:7
	v_add_nc_u32_e32 v0, 0x800, v43
	v_add_nc_u32_e32 v4, 0x400, v43
	s_waitcnt lgkmcnt(0)
	s_barrier
	buffer_gl0_inv
	ds_read2st64_b32 v[7:8], v43 offset1:4
	ds_read2_b32 v[30:31], v0 offset1:48
	ds_read2_b32 v[25:26], v4 offset0:48 offset1:96
	ds_read2_b32 v[21:22], v0 offset0:96 offset1:144
	;; [unrolled: 1-line block ×3, first 2 shown]
	ds_read_b32 v55, v49
	ds_read_b32 v41, v50
	;; [unrolled: 1-line block ×4, first 2 shown]
	ds_read_b32 v35, v43 offset:2816
                                        ; implicit-def: $vgpr24
	s_and_saveexec_b32 s1, s0
	s_cbranch_execz .LBB0_17
; %bb.16:
	v_add_nc_u32_e32 v23, 0xc0, v43
	ds_read_b32 v1, v44
	ds_read2st64_b32 v[23:24], v23 offset0:7 offset1:11
.LBB0_17:
	s_or_b32 exec_lo, exec_lo, s1
	v_and_b32_e32 v45, 15, v40
	v_lshrrev_b32_e32 v39, 4, v39
	v_lshrrev_b32_e32 v38, 4, v38
	;; [unrolled: 1-line block ×4, first 2 shown]
	v_lshlrev_b32_e32 v46, 4, v45
	v_mul_lo_u32 v39, v39, 48
	v_mul_lo_u32 v38, v38, 48
	;; [unrolled: 1-line block ×4, first 2 shown]
	global_load_dwordx4 v[64:67], v46, s[8:9]
	v_lshlrev_b32_e32 v46, 4, v40
	v_lshl_add_u32 v56, v40, 2, 0
	v_or_b32_e32 v39, v39, v45
	v_or_b32_e32 v38, v38, v45
	v_and_b32_e32 v46, 0xf0, v46
	v_or_b32_e32 v37, v37, v45
	v_or_b32_e32 v36, v36, v45
	v_lshl_add_u32 v60, v39, 2, 0
	v_lshl_add_u32 v59, v38, 2, 0
	global_load_dwordx4 v[68:71], v46, s[8:9]
	v_lshrrev_b32_e32 v46, 4, v40
	v_lshl_add_u32 v58, v37, 2, 0
	v_lshl_add_u32 v57, v36, 2, 0
	s_waitcnt vmcnt(0) lgkmcnt(0)
	s_barrier
	v_mul_u32_u24_e32 v46, 48, v46
	buffer_gl0_inv
	v_or_b32_e32 v46, v46, v45
	v_lshl_add_u32 v61, v46, 2, 0
	v_mul_f32_e32 v53, v8, v65
	v_mul_f32_e32 v54, v30, v67
	;; [unrolled: 1-line block ×13, first 2 shown]
	v_fmac_f32_e32 v54, v15, v66
	v_fmac_f32_e32 v53, v6, v64
	v_mul_f32_e32 v74, v11, v65
	v_mul_f32_e32 v75, v16, v67
	;; [unrolled: 1-line block ×5, first 2 shown]
	v_fmac_f32_e32 v38, v16, v66
	v_fmac_f32_e32 v39, v11, v64
	v_mul_f32_e32 v77, v9, v67
	v_mul_f32_e32 v69, v17, v69
	v_fmac_f32_e32 v46, v12, v64
	v_fmac_f32_e32 v47, v9, v66
	v_mul_f32_e32 v79, v10, v67
	v_mul_f32_e32 v67, v34, v67
	;; [unrolled: 1-line block ×3, first 2 shown]
	v_fma_f32 v30, v30, v66, -v73
	v_fmac_f32_e32 v37, v10, v66
	v_fmac_f32_e32 v36, v13, v64
	;; [unrolled: 1-line block ×3, first 2 shown]
	v_fma_f32 v13, v8, v64, -v72
	v_fmac_f32_e32 v48, v34, v66
	v_fmac_f32_e32 v62, v17, v68
	v_add_f32_e32 v17, v53, v54
	v_fma_f32 v15, v31, v66, -v75
	v_fma_f32 v31, v25, v64, -v74
	;; [unrolled: 1-line block ×3, first 2 shown]
	v_add_f32_e32 v20, v39, v38
	v_mul_f32_e32 v71, v18, v71
	v_fma_f32 v25, v26, v64, -v76
	v_fma_f32 v16, v21, v66, -v77
	;; [unrolled: 1-line block ×3, first 2 shown]
	v_add_f32_e32 v23, v46, v47
	v_fma_f32 v9, v22, v66, -v79
	v_fma_f32 v12, v19, v64, -v78
	;; [unrolled: 1-line block ×3, first 2 shown]
	v_fmac_f32_e32 v63, v18, v70
	v_add_f32_e32 v14, v5, v53
	v_sub_f32_e32 v18, v13, v30
	v_add_f32_e32 v34, v36, v37
	v_add_f32_e32 v65, v45, v48
	v_fmac_f32_e32 v5, -0.5, v17
	v_add_f32_e32 v19, v33, v39
	v_sub_f32_e32 v21, v31, v15
	v_fmac_f32_e32 v33, -0.5, v20
	v_fma_f32 v6, v24, v70, -v71
	v_add_f32_e32 v22, v32, v46
	v_sub_f32_e32 v24, v25, v16
	v_fmac_f32_e32 v32, -0.5, v23
	v_add_f32_e32 v26, v27, v36
	v_sub_f32_e32 v35, v12, v9
	v_add_f32_e32 v64, v2, v45
	v_sub_f32_e32 v66, v11, v10
	v_add_f32_e32 v14, v14, v54
	v_fmac_f32_e32 v27, -0.5, v34
	v_fmac_f32_e32 v2, -0.5, v65
	v_fmamk_f32 v23, v18, 0xbf5db3d7, v5
	v_fmac_f32_e32 v5, 0x3f5db3d7, v18
	v_add_f32_e32 v17, v19, v38
	v_fmamk_f32 v18, v21, 0xbf5db3d7, v33
	v_fmac_f32_e32 v33, 0x3f5db3d7, v21
	v_add_f32_e32 v19, v22, v47
	v_fmamk_f32 v21, v24, 0xbf5db3d7, v32
	v_add_f32_e32 v20, v26, v37
	v_add_f32_e32 v22, v64, v48
	v_fmac_f32_e32 v32, 0x3f5db3d7, v24
	v_fmamk_f32 v24, v35, 0xbf5db3d7, v27
	v_fmac_f32_e32 v27, 0x3f5db3d7, v35
	v_fmamk_f32 v26, v66, 0xbf5db3d7, v2
	v_fmac_f32_e32 v2, 0x3f5db3d7, v66
	ds_write2_b32 v61, v14, v23 offset1:16
	ds_write_b32 v61, v5 offset:128
	ds_write2_b32 v60, v17, v18 offset1:16
	ds_write_b32 v60, v33 offset:128
	;; [unrolled: 2-line block ×5, first 2 shown]
	s_and_saveexec_b32 s1, s0
	s_cbranch_execz .LBB0_19
; %bb.18:
	v_add_f32_e32 v2, v62, v63
	v_sub_f32_e32 v5, v8, v6
	v_add_f32_e32 v14, v3, v62
	v_fma_f32 v2, -0.5, v2, v3
	v_add_nc_u32_e32 v3, 0x800, v56
	v_add_f32_e32 v14, v14, v63
	v_fmamk_f32 v17, v5, 0x3f5db3d7, v2
	v_fmac_f32_e32 v2, 0xbf5db3d7, v5
	ds_write2_b32 v3, v14, v2 offset0:208 offset1:224
	ds_write_b32 v56, v17 offset:3008
.LBB0_19:
	s_or_b32 exec_lo, exec_lo, s1
	v_add_f32_e32 v2, v13, v30
	v_add_f32_e32 v3, v7, v13
	v_sub_f32_e32 v5, v53, v54
	v_add_f32_e32 v13, v31, v15
	v_add_f32_e32 v14, v25, v16
	v_fmac_f32_e32 v7, -0.5, v2
	v_add_f32_e32 v2, v55, v31
	v_add_nc_u32_e32 v18, 0x400, v43
	v_fmac_f32_e32 v55, -0.5, v13
	v_add_nc_u32_e32 v19, 0x600, v43
	v_fmamk_f32 v13, v5, 0x3f5db3d7, v7
	v_fmac_f32_e32 v7, 0xbf5db3d7, v5
	v_sub_f32_e32 v5, v39, v38
	v_add_f32_e32 v2, v2, v15
	v_add_f32_e32 v15, v41, v25
	v_fmac_f32_e32 v41, -0.5, v14
	v_sub_f32_e32 v14, v46, v47
	v_fmamk_f32 v17, v5, 0x3f5db3d7, v55
	v_fmac_f32_e32 v55, 0xbf5db3d7, v5
	v_add_f32_e32 v5, v15, v16
	v_add_f32_e32 v15, v12, v9
	v_fmamk_f32 v16, v14, 0x3f5db3d7, v41
	v_fmac_f32_e32 v41, 0xbf5db3d7, v14
	v_add_f32_e32 v14, v11, v10
	v_add_f32_e32 v3, v3, v30
	;; [unrolled: 1-line block ×3, first 2 shown]
	v_fmac_f32_e32 v4, -0.5, v15
	v_sub_f32_e32 v15, v36, v37
	v_add_f32_e32 v11, v0, v11
	v_fmac_f32_e32 v0, -0.5, v14
	v_sub_f32_e32 v14, v45, v48
	s_waitcnt lgkmcnt(0)
	s_barrier
	buffer_gl0_inv
	ds_read_b32 v53, v49
	ds_read_b32 v54, v50
	;; [unrolled: 1-line block ×4, first 2 shown]
	v_add_nc_u32_e32 v20, 0x800, v43
	ds_read_b32 v45, v43
	ds_read_b32 v48, v52
	ds_read2_b32 v[34:35], v18 offset0:32 offset1:80
	ds_read2_b32 v[30:31], v18 offset0:128 offset1:176
	;; [unrolled: 1-line block ×5, first 2 shown]
	v_add_f32_e32 v9, v12, v9
	v_fmamk_f32 v12, v15, 0x3f5db3d7, v4
	v_fmac_f32_e32 v4, 0xbf5db3d7, v15
	v_add_f32_e32 v10, v11, v10
	v_fmamk_f32 v11, v14, 0x3f5db3d7, v0
	v_fmac_f32_e32 v0, 0xbf5db3d7, v14
	s_waitcnt lgkmcnt(0)
	s_barrier
	buffer_gl0_inv
	ds_write2_b32 v61, v3, v13 offset1:16
	ds_write_b32 v61, v7 offset:128
	ds_write2_b32 v60, v2, v17 offset1:16
	ds_write_b32 v60, v55 offset:128
	;; [unrolled: 2-line block ×5, first 2 shown]
	s_and_saveexec_b32 s1, s0
	s_cbranch_execz .LBB0_21
; %bb.20:
	v_add_f32_e32 v0, v8, v6
	v_add_f32_e32 v2, v1, v8
	v_sub_f32_e32 v3, v62, v63
	v_fmac_f32_e32 v1, -0.5, v0
	v_add_nc_u32_e32 v0, 0x800, v56
	v_add_f32_e32 v2, v2, v6
	v_fmamk_f32 v4, v3, 0x3f5db3d7, v1
	v_fmamk_f32 v1, v3, 0xbf5db3d7, v1
	ds_write2_b32 v0, v2, v4 offset0:208 offset1:224
	ds_write_b32 v56, v1 offset:3008
.LBB0_21:
	s_or_b32 exec_lo, exec_lo, s1
	s_waitcnt lgkmcnt(0)
	s_barrier
	buffer_gl0_inv
	s_and_saveexec_b32 s0, vcc_lo
	s_cbranch_execz .LBB0_23
; %bb.22:
	v_mul_u32_u24_e32 v0, 15, v40
	v_add_nc_u32_e32 v73, 0x90, v42
	v_mad_u64_u32 v[55:56], null, s2, v42, 0
	v_add_nc_u32_e32 v71, 48, v42
	v_lshlrev_b32_e32 v0, 3, v0
	v_add_nc_u32_e32 v72, 0x60, v42
	v_or_b32_e32 v74, 0xc0, v42
	v_mad_u64_u32 v[57:58], null, s2, v73, 0
	s_clause 0x7
	global_load_dwordx4 v[24:27], v0, s[8:9] offset:256
	global_load_dwordx4 v[20:23], v0, s[8:9] offset:272
	;; [unrolled: 1-line block ×3, first 2 shown]
	global_load_dwordx2 v[40:41], v0, s[8:9] offset:368
	global_load_dwordx4 v[12:15], v0, s[8:9] offset:352
	global_load_dwordx4 v[8:11], v0, s[8:9] offset:336
	;; [unrolled: 1-line block ×4, first 2 shown]
	ds_read_b32 v52, v52
	ds_read_b32 v51, v51
	;; [unrolled: 1-line block ×4, first 2 shown]
	v_add_co_u32 v85, vcc_lo, s12, v28
	v_add_nc_u32_e32 v49, 0x400, v43
	v_add_nc_u32_e32 v50, 0x800, v43
	;; [unrolled: 1-line block ×3, first 2 shown]
	ds_read_b32 v83, v44
	ds_read_b32 v84, v43
	v_add_nc_u32_e32 v81, 0x600, v43
	v_add_co_ci_u32_e32 v86, vcc_lo, s13, v29, vcc_lo
	v_mad_u64_u32 v[28:29], null, s2, v71, 0
	v_mad_u64_u32 v[43:44], null, s2, v72, 0
	v_mad_u64_u32 v[59:60], null, s2, v74, 0
	v_add_nc_u32_e32 v75, 0xf0, v42
	v_mad_u64_u32 v[67:68], null, s3, v42, v[56:57]
	v_mad_u64_u32 v[63:64], null, s2, v76, 0
	;; [unrolled: 1-line block ×3, first 2 shown]
	v_add_nc_u32_e32 v77, 0x150, v42
	v_or_b32_e32 v78, 0x180, v42
	v_add_nc_u32_e32 v79, 0x1b0, v42
	v_add_nc_u32_e32 v80, 0x1e0, v42
	v_add_nc_u32_e32 v91, 0x210, v42
	v_mad_u64_u32 v[65:66], null, s2, v77, 0
	v_or_b32_e32 v92, 0x240, v42
	v_add_nc_u32_e32 v93, 0x270, v42
	s_waitcnt vmcnt(7)
	v_mul_f32_e32 v56, v54, v27
	s_waitcnt lgkmcnt(3)
	v_mul_f32_e32 v87, v69, v27
	v_mov_b32_e32 v27, v29
	v_mul_f32_e32 v29, v53, v25
	s_waitcnt lgkmcnt(2)
	v_mul_f32_e32 v88, v70, v25
	v_fma_f32 v89, v69, v26, -v56
	v_fmac_f32_e32 v87, v54, v26
	v_mov_b32_e32 v25, v44
	v_mov_b32_e32 v26, v60
	v_fma_f32 v90, v70, v24, -v29
	v_fmac_f32_e32 v88, v53, v24
	v_mov_b32_e32 v24, v58
	v_mad_u64_u32 v[53:54], null, s3, v71, v[27:28]
	v_mad_u64_u32 v[68:69], null, s3, v72, v[25:26]
	v_mov_b32_e32 v25, v64
	v_mad_u64_u32 v[26:27], null, s3, v74, v[26:27]
	v_mov_b32_e32 v29, v62
	v_mov_b32_e32 v56, v67
	v_mad_u64_u32 v[69:70], null, s3, v73, v[24:25]
	v_mad_u64_u32 v[70:71], null, s2, v78, 0
	;; [unrolled: 1-line block ×5, first 2 shown]
	v_mov_b32_e32 v25, v66
	v_mov_b32_e32 v44, v68
	;; [unrolled: 1-line block ×5, first 2 shown]
	v_mad_u64_u32 v[66:67], null, s3, v77, v[25:26]
	v_mov_b32_e32 v25, v71
	v_mov_b32_e32 v29, v53
	v_mad_u64_u32 v[53:54], null, s2, v80, 0
	v_mov_b32_e32 v64, v24
	v_mad_u64_u32 v[67:68], null, s3, v78, v[25:26]
	v_mad_u64_u32 v[68:69], null, s3, v79, v[27:28]
	ds_read2_b32 v[26:27], v49 offset0:32 offset1:80
	v_mov_b32_e32 v25, v54
	v_mov_b32_e32 v62, v72
	ds_read2_b32 v[75:76], v50 offset0:160 offset1:208
	v_mov_b32_e32 v71, v67
	s_waitcnt vmcnt(2)
	v_mul_f32_e32 v72, v36, v10
	v_mul_f32_e32 v36, v36, v11
	v_lshlrev_b64 v[55:56], 3, v[55:56]
	v_mov_b32_e32 v74, v68
	v_add_co_u32 v55, vcc_lo, v85, v55
	v_add_co_ci_u32_e32 v56, vcc_lo, v86, v56, vcc_lo
	v_lshlrev_b64 v[67:68], 3, v[73:74]
	s_waitcnt lgkmcnt(1)
	v_mad_u64_u32 v[24:25], null, s3, v80, v[25:26]
	ds_read2_b32 v[77:78], v50 offset0:64 offset1:112
	ds_read2_b32 v[79:80], v81 offset0:96 offset1:144
	;; [unrolled: 1-line block ×3, first 2 shown]
	v_mad_u64_u32 v[81:82], null, s2, v91, 0
	v_mov_b32_e32 v54, v24
	v_lshlrev_b64 v[24:25], 3, v[28:29]
	v_lshlrev_b64 v[28:29], 3, v[43:44]
	v_lshlrev_b64 v[43:44], 3, v[57:58]
	v_lshlrev_b64 v[57:58], 3, v[59:60]
	v_lshlrev_b64 v[59:60], 3, v[61:62]
	v_lshlrev_b64 v[61:62], 3, v[63:64]
	v_lshlrev_b64 v[63:64], 3, v[65:66]
	v_lshlrev_b64 v[65:66], 3, v[70:71]
	v_mul_f32_e32 v71, v46, v21
	v_mul_f32_e32 v21, v51, v21
	v_add_co_u32 v24, vcc_lo, v85, v24
	s_waitcnt lgkmcnt(2)
	v_fmac_f32_e32 v72, v77, v11
	v_fma_f32 v51, v51, v20, -v71
	v_mul_f32_e32 v71, v48, v22
	v_mul_f32_e32 v48, v48, v23
	v_fmac_f32_e32 v21, v46, v20
	v_mul_f32_e32 v46, v47, v16
	v_mul_f32_e32 v20, v47, v17
	v_fmac_f32_e32 v71, v52, v23
	v_mul_f32_e32 v23, v34, v18
	v_mul_f32_e32 v34, v34, v19
	v_fma_f32 v22, v52, v22, -v48
	v_mul_f32_e32 v47, v39, v40
	v_mul_f32_e32 v39, v39, v41
	;; [unrolled: 1-line block ×4, first 2 shown]
	v_fmac_f32_e32 v23, v26, v19
	v_fma_f32 v26, v26, v18, -v34
	v_mul_f32_e32 v34, v37, v12
	v_mul_f32_e32 v37, v37, v13
	v_fma_f32 v39, v76, v40, -v39
	v_mul_f32_e32 v40, v33, v9
	s_waitcnt lgkmcnt(1)
	v_mul_f32_e32 v9, v80, v9
	v_fmac_f32_e32 v48, v75, v15
	v_fma_f32 v14, v75, v14, -v38
	s_waitcnt vmcnt(1)
	v_mul_f32_e32 v15, v32, v7
	v_mul_f32_e32 v7, v79, v7
	v_fmac_f32_e32 v34, v78, v13
	v_fma_f32 v12, v78, v12, -v37
	v_mul_f32_e32 v13, v31, v5
	s_waitcnt lgkmcnt(0)
	v_mul_f32_e32 v5, v50, v5
	s_waitcnt vmcnt(0)
	v_mul_f32_e32 v37, v30, v3
	v_mul_f32_e32 v38, v35, v0
	;; [unrolled: 1-line block ×4, first 2 shown]
	v_fmac_f32_e32 v46, v83, v17
	v_fma_f32 v52, v83, v16, -v20
	v_fmac_f32_e32 v47, v76, v41
	v_fma_f32 v10, v77, v10, -v36
	v_fma_f32 v11, v80, v8, -v40
	v_fmac_f32_e32 v9, v33, v8
	v_fma_f32 v8, v79, v6, -v15
	v_fmac_f32_e32 v7, v32, v6
	;; [unrolled: 2-line block ×5, first 2 shown]
	v_sub_f32_e32 v1, v89, v8
	v_sub_f32_e32 v2, v23, v48
	;; [unrolled: 1-line block ×18, first 2 shown]
	v_add_f32_e32 v32, v7, v13
	v_sub_f32_e32 v33, v11, v14
	v_sub_f32_e32 v34, v6, v15
	v_add_f32_e32 v35, v9, v27
	v_add_f32_e32 v36, v5, v12
	v_add_f32_e32 v37, v3, v10
	v_fma_f32 v39, v84, 2.0, -v4
	v_fma_f32 v10, v22, 2.0, -v10
	;; [unrolled: 1-line block ×16, first 2 shown]
	v_fmamk_f32 v41, v30, 0x3f3504f3, v31
	v_fmamk_f32 v45, v33, 0x3f3504f3, v34
	;; [unrolled: 1-line block ×4, first 2 shown]
	v_sub_f32_e32 v10, v39, v10
	v_sub_f32_e32 v12, v23, v12
	;; [unrolled: 1-line block ×7, first 2 shown]
	v_fma_f32 v48, v4, 2.0, -v31
	v_fma_f32 v4, v1, 2.0, -v30
	;; [unrolled: 1-line block ×8, first 2 shown]
	v_sub_f32_e32 v2, v22, v2
	v_lshlrev_b64 v[19:20], 3, v[53:54]
	v_fmac_f32_e32 v41, 0xbf3504f3, v32
	v_fmac_f32_e32 v45, 0xbf3504f3, v35
	v_fmac_f32_e32 v46, 0x3f3504f3, v33
	v_fmac_f32_e32 v47, 0x3f3504f3, v30
	v_sub_f32_e32 v5, v12, v14
	v_add_f32_e32 v32, v13, v8
	v_fmamk_f32 v33, v4, 0xbf3504f3, v48
	v_fmamk_f32 v35, v6, 0xbf3504f3, v49
	;; [unrolled: 1-line block ×4, first 2 shown]
	v_fma_f32 v39, v39, 2.0, -v10
	v_fma_f32 v13, v40, 2.0, -v13
	;; [unrolled: 1-line block ×7, first 2 shown]
	v_add_co_ci_u32_e32 v25, vcc_lo, v86, v25, vcc_lo
	v_sub_f32_e32 v30, v10, v2
	v_fma_f32 v22, v22, 2.0, -v2
	v_add_co_u32 v28, vcc_lo, v85, v28
	v_add_f32_e32 v11, v0, v15
	v_fmamk_f32 v1, v45, 0x3f6c835e, v41
	v_fmamk_f32 v0, v46, 0x3f6c835e, v47
	v_fmac_f32_e32 v33, 0xbf3504f3, v7
	v_fmac_f32_e32 v35, 0xbf3504f3, v9
	;; [unrolled: 1-line block ×4, first 2 shown]
	v_sub_f32_e32 v38, v39, v13
	v_sub_f32_e32 v13, v27, v14
	;; [unrolled: 1-line block ×3, first 2 shown]
	v_fma_f32 v54, v31, 2.0, -v41
	v_fma_f32 v26, v34, 2.0, -v45
	;; [unrolled: 1-line block ×4, first 2 shown]
	v_add_co_ci_u32_e32 v29, vcc_lo, v86, v29, vcc_lo
	v_add_co_u32 v43, vcc_lo, v85, v43
	v_fmamk_f32 v3, v5, 0x3f3504f3, v30
	v_sub_f32_e32 v40, v21, v22
	v_add_co_ci_u32_e32 v44, vcc_lo, v86, v44, vcc_lo
	v_fma_f32 v72, v8, 2.0, -v32
	v_fmac_f32_e32 v1, 0xbec3ef15, v46
	v_fmac_f32_e32 v0, 0x3ec3ef15, v45
	v_fmamk_f32 v8, v31, 0xbec3ef15, v34
	v_fma_f32 v45, v48, 2.0, -v33
	v_fma_f32 v46, v49, 2.0, -v35
	;; [unrolled: 1-line block ×4, first 2 shown]
	v_add_co_u32 v57, vcc_lo, v85, v57
	v_fma_f32 v36, v10, 2.0, -v30
	v_fma_f32 v37, v12, 2.0, -v5
	;; [unrolled: 1-line block ×3, first 2 shown]
	v_add_co_ci_u32_e32 v58, vcc_lo, v86, v58, vcc_lo
	v_add_co_u32 v59, vcc_lo, v85, v59
	v_fmamk_f32 v2, v11, 0x3f3504f3, v32
	v_fmac_f32_e32 v3, 0xbf3504f3, v11
	v_fmamk_f32 v9, v26, 0xbec3ef15, v54
	v_fma_f32 v39, v39, 2.0, -v38
	v_fma_f32 v23, v23, 2.0, -v14
	;; [unrolled: 1-line block ×4, first 2 shown]
	v_fmac_f32_e32 v8, 0x3f6c835e, v26
	v_fmamk_f32 v27, v46, 0xbf6c835e, v45
	v_fmamk_f32 v26, v48, 0xbf6c835e, v49
	v_add_co_ci_u32_e32 v60, vcc_lo, v86, v60, vcc_lo
	v_fmamk_f32 v11, v37, 0xbf3504f3, v36
	v_fmamk_f32 v10, v71, 0xbf3504f3, v72
	v_add_co_u32 v61, vcc_lo, v85, v61
	v_add_co_ci_u32_e32 v62, vcc_lo, v86, v62, vcc_lo
	v_fmac_f32_e32 v2, 0x3f3504f3, v5
	v_fmamk_f32 v5, v35, 0x3ec3ef15, v33
	v_fmamk_f32 v4, v52, 0x3ec3ef15, v53
	v_sub_f32_e32 v7, v38, v13
	v_fma_f32 v15, v30, 2.0, -v3
	v_fmac_f32_e32 v9, 0xbf6c835e, v31
	v_sub_f32_e32 v31, v39, v23
	v_sub_f32_e32 v30, v50, v51
	v_add_co_u32 v63, vcc_lo, v85, v63
	v_add_f32_e32 v6, v40, v14
	v_fmac_f32_e32 v27, 0xbec3ef15, v48
	v_fmac_f32_e32 v26, 0x3ec3ef15, v46
	v_fmac_f32_e32 v11, 0xbf3504f3, v71
	v_fmac_f32_e32 v10, 0x3f3504f3, v37
	v_add_co_ci_u32_e32 v64, vcc_lo, v86, v64, vcc_lo
	v_add_co_u32 v65, vcc_lo, v85, v65
	v_mad_u64_u32 v[69:70], null, s2, v92, 0
	v_mov_b32_e32 v18, v82
	v_fmac_f32_e32 v5, 0xbf6c835e, v52
	v_fmac_f32_e32 v4, 0x3f6c835e, v35
	v_fma_f32 v22, v38, 2.0, -v7
	v_fma_f32 v39, v39, 2.0, -v31
	;; [unrolled: 1-line block ×3, first 2 shown]
	v_add_co_ci_u32_e32 v66, vcc_lo, v86, v66, vcc_lo
	v_fma_f32 v13, v41, 2.0, -v1
	v_fma_f32 v21, v40, 2.0, -v6
	;; [unrolled: 1-line block ×4, first 2 shown]
	v_add_co_u32 v67, vcc_lo, v85, v67
	v_fma_f32 v37, v36, 2.0, -v11
	v_fma_f32 v36, v72, 2.0, -v10
	v_fma_f32 v35, v54, 2.0, -v9
	v_fma_f32 v34, v34, 2.0, -v8
	v_add_co_ci_u32_e32 v68, vcc_lo, v86, v68, vcc_lo
	v_fma_f32 v12, v47, 2.0, -v0
	v_mad_u64_u32 v[16:17], null, s2, v93, 0
	v_fma_f32 v14, v32, 2.0, -v2
	v_fma_f32 v33, v33, 2.0, -v5
	;; [unrolled: 1-line block ×3, first 2 shown]
	global_store_dwordx2 v[55:56], v[38:39], off
	global_store_dwordx2 v[24:25], v[40:41], off
	;; [unrolled: 1-line block ×10, first 2 shown]
	v_add_co_u32 v12, vcc_lo, v85, v19
	v_mad_u64_u32 v[18:19], null, s3, v91, v[18:19]
	v_add_nc_u32_e32 v24, 0x2a0, v42
	v_mov_b32_e32 v14, v70
	v_add_co_ci_u32_e32 v13, vcc_lo, v86, v20, vcc_lo
	v_add_nc_u32_e32 v25, 0x2d0, v42
	v_mad_u64_u32 v[19:20], null, s2, v24, 0
	v_mad_u64_u32 v[14:15], null, s3, v92, v[14:15]
	v_mov_b32_e32 v15, v17
	v_mov_b32_e32 v82, v18
	global_store_dwordx2 v[12:13], v[10:11], off
	v_mov_b32_e32 v10, v20
	v_mad_u64_u32 v[21:22], null, s3, v93, v[15:16]
	v_lshlrev_b64 v[11:12], 3, v[81:82]
	v_mad_u64_u32 v[22:23], null, s2, v25, 0
	v_mov_b32_e32 v70, v14
	v_mad_u64_u32 v[13:14], null, s3, v24, v[10:11]
	v_add_co_u32 v11, vcc_lo, v85, v11
	v_mov_b32_e32 v10, v23
	v_mov_b32_e32 v17, v21
	v_lshlrev_b64 v[14:15], 3, v[69:70]
	v_add_co_ci_u32_e32 v12, vcc_lo, v86, v12, vcc_lo
	v_mad_u64_u32 v[23:24], null, s3, v25, v[10:11]
	v_mov_b32_e32 v20, v13
	v_lshlrev_b64 v[16:17], 3, v[16:17]
	v_add_co_u32 v13, vcc_lo, v85, v14
	v_add_co_ci_u32_e32 v14, vcc_lo, v86, v15, vcc_lo
	v_lshlrev_b64 v[18:19], 3, v[19:20]
	v_add_co_u32 v15, vcc_lo, v85, v16
	v_lshlrev_b64 v[20:21], 3, v[22:23]
	v_add_co_ci_u32_e32 v16, vcc_lo, v86, v17, vcc_lo
	v_add_co_u32 v17, vcc_lo, v85, v18
	v_add_co_ci_u32_e32 v18, vcc_lo, v86, v19, vcc_lo
	v_add_co_u32 v19, vcc_lo, v85, v20
	v_add_co_ci_u32_e32 v20, vcc_lo, v86, v21, vcc_lo
	global_store_dwordx2 v[11:12], v[8:9], off
	global_store_dwordx2 v[13:14], v[6:7], off
	;; [unrolled: 1-line block ×5, first 2 shown]
.LBB0_23:
	s_endpgm
	.section	.rodata,"a",@progbits
	.p2align	6, 0x0
	.amdhsa_kernel fft_rtc_back_len768_factors_16_3_16_wgs_48_tpt_48_halfLds_sp_ip_CI_sbrr_dirReg
		.amdhsa_group_segment_fixed_size 0
		.amdhsa_private_segment_fixed_size 0
		.amdhsa_kernarg_size 88
		.amdhsa_user_sgpr_count 6
		.amdhsa_user_sgpr_private_segment_buffer 1
		.amdhsa_user_sgpr_dispatch_ptr 0
		.amdhsa_user_sgpr_queue_ptr 0
		.amdhsa_user_sgpr_kernarg_segment_ptr 1
		.amdhsa_user_sgpr_dispatch_id 0
		.amdhsa_user_sgpr_flat_scratch_init 0
		.amdhsa_user_sgpr_private_segment_size 0
		.amdhsa_wavefront_size32 1
		.amdhsa_uses_dynamic_stack 0
		.amdhsa_system_sgpr_private_segment_wavefront_offset 0
		.amdhsa_system_sgpr_workgroup_id_x 1
		.amdhsa_system_sgpr_workgroup_id_y 0
		.amdhsa_system_sgpr_workgroup_id_z 0
		.amdhsa_system_sgpr_workgroup_info 0
		.amdhsa_system_vgpr_workitem_id 0
		.amdhsa_next_free_vgpr 94
		.amdhsa_next_free_sgpr 23
		.amdhsa_reserve_vcc 1
		.amdhsa_reserve_flat_scratch 0
		.amdhsa_float_round_mode_32 0
		.amdhsa_float_round_mode_16_64 0
		.amdhsa_float_denorm_mode_32 3
		.amdhsa_float_denorm_mode_16_64 3
		.amdhsa_dx10_clamp 1
		.amdhsa_ieee_mode 1
		.amdhsa_fp16_overflow 0
		.amdhsa_workgroup_processor_mode 1
		.amdhsa_memory_ordered 1
		.amdhsa_forward_progress 0
		.amdhsa_shared_vgpr_count 0
		.amdhsa_exception_fp_ieee_invalid_op 0
		.amdhsa_exception_fp_denorm_src 0
		.amdhsa_exception_fp_ieee_div_zero 0
		.amdhsa_exception_fp_ieee_overflow 0
		.amdhsa_exception_fp_ieee_underflow 0
		.amdhsa_exception_fp_ieee_inexact 0
		.amdhsa_exception_int_div_zero 0
	.end_amdhsa_kernel
	.text
.Lfunc_end0:
	.size	fft_rtc_back_len768_factors_16_3_16_wgs_48_tpt_48_halfLds_sp_ip_CI_sbrr_dirReg, .Lfunc_end0-fft_rtc_back_len768_factors_16_3_16_wgs_48_tpt_48_halfLds_sp_ip_CI_sbrr_dirReg
                                        ; -- End function
	.section	.AMDGPU.csdata,"",@progbits
; Kernel info:
; codeLenInByte = 7568
; NumSgprs: 25
; NumVgprs: 94
; ScratchSize: 0
; MemoryBound: 0
; FloatMode: 240
; IeeeMode: 1
; LDSByteSize: 0 bytes/workgroup (compile time only)
; SGPRBlocks: 3
; VGPRBlocks: 11
; NumSGPRsForWavesPerEU: 25
; NumVGPRsForWavesPerEU: 94
; Occupancy: 10
; WaveLimiterHint : 1
; COMPUTE_PGM_RSRC2:SCRATCH_EN: 0
; COMPUTE_PGM_RSRC2:USER_SGPR: 6
; COMPUTE_PGM_RSRC2:TRAP_HANDLER: 0
; COMPUTE_PGM_RSRC2:TGID_X_EN: 1
; COMPUTE_PGM_RSRC2:TGID_Y_EN: 0
; COMPUTE_PGM_RSRC2:TGID_Z_EN: 0
; COMPUTE_PGM_RSRC2:TIDIG_COMP_CNT: 0
	.text
	.p2alignl 6, 3214868480
	.fill 48, 4, 3214868480
	.type	__hip_cuid_45cf239ad08c0bb9,@object ; @__hip_cuid_45cf239ad08c0bb9
	.section	.bss,"aw",@nobits
	.globl	__hip_cuid_45cf239ad08c0bb9
__hip_cuid_45cf239ad08c0bb9:
	.byte	0                               ; 0x0
	.size	__hip_cuid_45cf239ad08c0bb9, 1

	.ident	"AMD clang version 19.0.0git (https://github.com/RadeonOpenCompute/llvm-project roc-6.4.0 25133 c7fe45cf4b819c5991fe208aaa96edf142730f1d)"
	.section	".note.GNU-stack","",@progbits
	.addrsig
	.addrsig_sym __hip_cuid_45cf239ad08c0bb9
	.amdgpu_metadata
---
amdhsa.kernels:
  - .args:
      - .actual_access:  read_only
        .address_space:  global
        .offset:         0
        .size:           8
        .value_kind:     global_buffer
      - .offset:         8
        .size:           8
        .value_kind:     by_value
      - .actual_access:  read_only
        .address_space:  global
        .offset:         16
        .size:           8
        .value_kind:     global_buffer
      - .actual_access:  read_only
        .address_space:  global
        .offset:         24
        .size:           8
        .value_kind:     global_buffer
      - .offset:         32
        .size:           8
        .value_kind:     by_value
      - .actual_access:  read_only
        .address_space:  global
        .offset:         40
        .size:           8
        .value_kind:     global_buffer
      - .actual_access:  read_only
        .address_space:  global
        .offset:         48
        .size:           8
        .value_kind:     global_buffer
      - .offset:         56
        .size:           4
        .value_kind:     by_value
      - .actual_access:  read_only
        .address_space:  global
        .offset:         64
        .size:           8
        .value_kind:     global_buffer
      - .actual_access:  read_only
        .address_space:  global
        .offset:         72
        .size:           8
        .value_kind:     global_buffer
      - .address_space:  global
        .offset:         80
        .size:           8
        .value_kind:     global_buffer
    .group_segment_fixed_size: 0
    .kernarg_segment_align: 8
    .kernarg_segment_size: 88
    .language:       OpenCL C
    .language_version:
      - 2
      - 0
    .max_flat_workgroup_size: 48
    .name:           fft_rtc_back_len768_factors_16_3_16_wgs_48_tpt_48_halfLds_sp_ip_CI_sbrr_dirReg
    .private_segment_fixed_size: 0
    .sgpr_count:     25
    .sgpr_spill_count: 0
    .symbol:         fft_rtc_back_len768_factors_16_3_16_wgs_48_tpt_48_halfLds_sp_ip_CI_sbrr_dirReg.kd
    .uniform_work_group_size: 1
    .uses_dynamic_stack: false
    .vgpr_count:     94
    .vgpr_spill_count: 0
    .wavefront_size: 32
    .workgroup_processor_mode: 1
amdhsa.target:   amdgcn-amd-amdhsa--gfx1030
amdhsa.version:
  - 1
  - 2
...

	.end_amdgpu_metadata
